;; amdgpu-corpus repo=ROCm/rocFFT kind=compiled arch=gfx950 opt=O3
	.text
	.amdgcn_target "amdgcn-amd-amdhsa--gfx950"
	.amdhsa_code_object_version 6
	.protected	fft_rtc_fwd_len300_factors_10_10_3_wgs_60_tpt_30_halfLds_dp_ip_CI_unitstride_sbrr_R2C_dirReg ; -- Begin function fft_rtc_fwd_len300_factors_10_10_3_wgs_60_tpt_30_halfLds_dp_ip_CI_unitstride_sbrr_R2C_dirReg
	.globl	fft_rtc_fwd_len300_factors_10_10_3_wgs_60_tpt_30_halfLds_dp_ip_CI_unitstride_sbrr_R2C_dirReg
	.p2align	8
	.type	fft_rtc_fwd_len300_factors_10_10_3_wgs_60_tpt_30_halfLds_dp_ip_CI_unitstride_sbrr_R2C_dirReg,@function
fft_rtc_fwd_len300_factors_10_10_3_wgs_60_tpt_30_halfLds_dp_ip_CI_unitstride_sbrr_R2C_dirReg: ; @fft_rtc_fwd_len300_factors_10_10_3_wgs_60_tpt_30_halfLds_dp_ip_CI_unitstride_sbrr_R2C_dirReg
; %bb.0:
	s_load_dwordx2 s[8:9], s[0:1], 0x50
	s_load_dwordx4 s[4:7], s[0:1], 0x0
	s_load_dwordx2 s[10:11], s[0:1], 0x18
	v_mul_u32_u24_e32 v1, 0x889, v0
	v_lshrrev_b32_e32 v1, 16, v1
	v_lshl_add_u32 v6, s2, 1, v1
	v_mov_b32_e32 v4, 0
	s_waitcnt lgkmcnt(0)
	v_cmp_lt_u64_e64 s[2:3], s[6:7], 2
	v_mov_b32_e32 v7, v4
	s_and_b64 vcc, exec, s[2:3]
	v_mov_b64_e32 v[2:3], 0
	s_cbranch_vccnz .LBB0_8
; %bb.1:
	s_load_dwordx2 s[2:3], s[0:1], 0x10
	s_add_u32 s12, s10, 8
	s_addc_u32 s13, s11, 0
	s_mov_b64 s[14:15], 1
	v_mov_b64_e32 v[2:3], 0
	s_waitcnt lgkmcnt(0)
	s_add_u32 s16, s2, 8
	s_addc_u32 s17, s3, 0
.LBB0_2:                                ; =>This Inner Loop Header: Depth=1
	s_load_dwordx2 s[18:19], s[16:17], 0x0
                                        ; implicit-def: $vgpr8_vgpr9
	s_waitcnt lgkmcnt(0)
	v_or_b32_e32 v5, s19, v7
	v_cmp_ne_u64_e32 vcc, 0, v[4:5]
	s_and_saveexec_b64 s[2:3], vcc
	s_xor_b64 s[20:21], exec, s[2:3]
	s_cbranch_execz .LBB0_4
; %bb.3:                                ;   in Loop: Header=BB0_2 Depth=1
	v_cvt_f32_u32_e32 v5, s18
	v_cvt_f32_u32_e32 v8, s19
	s_sub_u32 s2, 0, s18
	s_subb_u32 s3, 0, s19
	v_fmac_f32_e32 v5, 0x4f800000, v8
	v_rcp_f32_e32 v5, v5
	s_nop 0
	v_mul_f32_e32 v5, 0x5f7ffffc, v5
	v_mul_f32_e32 v8, 0x2f800000, v5
	v_trunc_f32_e32 v8, v8
	v_fmac_f32_e32 v5, 0xcf800000, v8
	v_cvt_u32_f32_e32 v12, v8
	v_cvt_u32_f32_e32 v5, v5
	v_mul_lo_u32 v8, s2, v12
	v_mul_hi_u32 v10, s2, v5
	v_mul_lo_u32 v9, s3, v5
	v_add_u32_e32 v10, v10, v8
	v_mul_lo_u32 v13, s2, v5
	v_add_u32_e32 v14, v10, v9
	v_mul_hi_u32 v8, v5, v13
	v_mul_hi_u32 v11, v5, v14
	v_mul_lo_u32 v10, v5, v14
	v_mov_b32_e32 v9, v4
	v_lshl_add_u64 v[8:9], v[8:9], 0, v[10:11]
	v_mul_hi_u32 v11, v12, v13
	v_mul_lo_u32 v13, v12, v13
	v_add_co_u32_e32 v8, vcc, v8, v13
	v_mul_hi_u32 v10, v12, v14
	s_nop 0
	v_addc_co_u32_e32 v8, vcc, v9, v11, vcc
	v_mov_b32_e32 v9, v4
	s_nop 0
	v_addc_co_u32_e32 v11, vcc, 0, v10, vcc
	v_mul_lo_u32 v10, v12, v14
	v_lshl_add_u64 v[8:9], v[8:9], 0, v[10:11]
	v_add_co_u32_e32 v5, vcc, v5, v8
	v_mul_lo_u32 v10, s2, v5
	s_nop 0
	v_addc_co_u32_e32 v12, vcc, v12, v9, vcc
	v_mul_lo_u32 v8, s2, v12
	v_mul_hi_u32 v9, s2, v5
	v_add_u32_e32 v8, v9, v8
	v_mul_lo_u32 v9, s3, v5
	v_add_u32_e32 v13, v8, v9
	v_mul_hi_u32 v15, v12, v10
	v_mul_lo_u32 v16, v12, v10
	v_mul_hi_u32 v9, v5, v13
	v_mul_lo_u32 v8, v5, v13
	v_mul_hi_u32 v10, v5, v10
	v_mov_b32_e32 v11, v4
	v_lshl_add_u64 v[8:9], v[10:11], 0, v[8:9]
	v_add_co_u32_e32 v8, vcc, v8, v16
	v_mul_hi_u32 v14, v12, v13
	s_nop 0
	v_addc_co_u32_e32 v8, vcc, v9, v15, vcc
	v_mul_lo_u32 v10, v12, v13
	s_nop 0
	v_addc_co_u32_e32 v11, vcc, 0, v14, vcc
	v_mov_b32_e32 v9, v4
	v_lshl_add_u64 v[8:9], v[8:9], 0, v[10:11]
	v_add_co_u32_e32 v5, vcc, v5, v8
	v_mul_hi_u32 v10, v6, v5
	s_nop 0
	v_addc_co_u32_e32 v12, vcc, v12, v9, vcc
	v_mad_u64_u32 v[8:9], s[2:3], v6, v12, 0
	v_mov_b32_e32 v11, v4
	v_lshl_add_u64 v[8:9], v[10:11], 0, v[8:9]
	v_mad_u64_u32 v[10:11], s[2:3], v7, v12, 0
	v_mad_u64_u32 v[12:13], s[2:3], v7, v5, 0
	v_add_co_u32_e32 v5, vcc, v8, v12
	s_nop 1
	v_addc_co_u32_e32 v8, vcc, v9, v13, vcc
	v_mov_b32_e32 v9, v4
	s_nop 0
	v_addc_co_u32_e32 v11, vcc, 0, v11, vcc
	v_lshl_add_u64 v[8:9], v[8:9], 0, v[10:11]
	v_mul_lo_u32 v5, s19, v8
	v_mul_lo_u32 v12, s18, v9
	v_mad_u64_u32 v[10:11], s[2:3], s18, v8, 0
	v_add3_u32 v5, v11, v12, v5
	v_sub_u32_e32 v11, v7, v5
	v_mov_b32_e32 v12, s19
	v_sub_co_u32_e32 v14, vcc, v6, v10
	s_nop 1
	v_subb_co_u32_e64 v10, s[2:3], v11, v12, vcc
	v_subrev_co_u32_e64 v11, s[2:3], s18, v14
	v_subb_co_u32_e32 v5, vcc, v7, v5, vcc
	s_nop 0
	v_subbrev_co_u32_e64 v10, s[2:3], 0, v10, s[2:3]
	v_cmp_le_u32_e64 s[2:3], s19, v10
	v_cmp_le_u32_e32 vcc, s19, v5
	s_nop 0
	v_cndmask_b32_e64 v12, 0, -1, s[2:3]
	v_cmp_le_u32_e64 s[2:3], s18, v11
	s_nop 1
	v_cndmask_b32_e64 v11, 0, -1, s[2:3]
	v_cmp_eq_u32_e64 s[2:3], s19, v10
	s_nop 1
	v_cndmask_b32_e64 v15, v12, v11, s[2:3]
	v_lshl_add_u64 v[10:11], v[8:9], 0, 2
	v_lshl_add_u64 v[12:13], v[8:9], 0, 1
	v_cmp_ne_u32_e64 s[2:3], 0, v15
	s_nop 1
	v_cndmask_b32_e64 v11, v13, v11, s[2:3]
	v_cndmask_b32_e64 v13, 0, -1, vcc
	v_cmp_le_u32_e32 vcc, s18, v14
	s_nop 1
	v_cndmask_b32_e64 v14, 0, -1, vcc
	v_cmp_eq_u32_e32 vcc, s19, v5
	s_nop 1
	v_cndmask_b32_e32 v5, v13, v14, vcc
	v_cmp_ne_u32_e32 vcc, 0, v5
	v_cndmask_b32_e64 v5, v12, v10, s[2:3]
	s_nop 0
	v_cndmask_b32_e32 v9, v9, v11, vcc
	v_cndmask_b32_e32 v8, v8, v5, vcc
.LBB0_4:                                ;   in Loop: Header=BB0_2 Depth=1
	s_andn2_saveexec_b64 s[2:3], s[20:21]
	s_cbranch_execz .LBB0_6
; %bb.5:                                ;   in Loop: Header=BB0_2 Depth=1
	v_cvt_f32_u32_e32 v5, s18
	s_sub_i32 s20, 0, s18
	v_rcp_iflag_f32_e32 v5, v5
	s_nop 0
	v_mul_f32_e32 v5, 0x4f7ffffe, v5
	v_cvt_u32_f32_e32 v5, v5
	v_mul_lo_u32 v8, s20, v5
	v_mul_hi_u32 v8, v5, v8
	v_add_u32_e32 v5, v5, v8
	v_mul_hi_u32 v5, v6, v5
	v_mul_lo_u32 v8, v5, s18
	v_sub_u32_e32 v8, v6, v8
	v_add_u32_e32 v9, 1, v5
	v_subrev_u32_e32 v10, s18, v8
	v_cmp_le_u32_e32 vcc, s18, v8
	s_nop 1
	v_cndmask_b32_e32 v8, v8, v10, vcc
	v_cndmask_b32_e32 v5, v5, v9, vcc
	v_add_u32_e32 v9, 1, v5
	v_cmp_le_u32_e32 vcc, s18, v8
	s_nop 1
	v_cndmask_b32_e32 v8, v5, v9, vcc
	v_mov_b32_e32 v9, v4
.LBB0_6:                                ;   in Loop: Header=BB0_2 Depth=1
	s_or_b64 exec, exec, s[2:3]
	v_mad_u64_u32 v[10:11], s[2:3], v8, s18, 0
	s_load_dwordx2 s[2:3], s[12:13], 0x0
	v_mul_lo_u32 v5, v9, s18
	v_mul_lo_u32 v12, v8, s19
	v_add3_u32 v5, v11, v12, v5
	v_sub_co_u32_e32 v6, vcc, v6, v10
	s_add_u32 s14, s14, 1
	s_nop 0
	v_subb_co_u32_e32 v5, vcc, v7, v5, vcc
	s_addc_u32 s15, s15, 0
	s_waitcnt lgkmcnt(0)
	v_mul_lo_u32 v5, s2, v5
	v_mul_lo_u32 v7, s3, v6
	v_mad_u64_u32 v[2:3], s[2:3], s2, v6, v[2:3]
	s_add_u32 s12, s12, 8
	v_add3_u32 v3, v7, v3, v5
	s_addc_u32 s13, s13, 0
	v_mov_b64_e32 v[6:7], s[6:7]
	s_add_u32 s16, s16, 8
	v_cmp_ge_u64_e32 vcc, s[14:15], v[6:7]
	s_addc_u32 s17, s17, 0
	s_cbranch_vccnz .LBB0_9
; %bb.7:                                ;   in Loop: Header=BB0_2 Depth=1
	v_mov_b64_e32 v[6:7], v[8:9]
	s_branch .LBB0_2
.LBB0_8:
	v_mov_b64_e32 v[8:9], v[6:7]
.LBB0_9:
	s_lshl_b64 s[2:3], s[6:7], 3
	s_add_u32 s2, s10, s2
	s_addc_u32 s3, s11, s3
	s_load_dwordx2 s[6:7], s[2:3], 0x0
	s_load_dwordx2 s[10:11], s[0:1], 0x20
	v_and_b32_e32 v1, 1, v1
	v_cmp_eq_u32_e32 vcc, 1, v1
	v_mov_b32_e32 v1, 0x12d
	s_waitcnt lgkmcnt(0)
	v_mul_lo_u32 v4, s6, v9
	v_mul_lo_u32 v5, s7, v8
	v_mad_u64_u32 v[2:3], s[0:1], s6, v8, v[2:3]
	s_mov_b32 s6, 0x8888889
	v_add3_u32 v3, v5, v3, v4
	v_mul_hi_u32 v4, v0, s6
	v_mul_u32_u24_e32 v4, 30, v4
	v_sub_u32_e32 v48, v0, v4
	v_cmp_gt_u64_e64 s[0:1], s[10:11], v[8:9]
	v_cmp_le_u64_e64 s[2:3], s[10:11], v[8:9]
	v_add_u32_e32 v52, 30, v48
	v_add_u32_e32 v56, 60, v48
                                        ; implicit-def: $vgpr54
	s_and_saveexec_b64 s[6:7], s[2:3]
	s_xor_b64 s[2:3], exec, s[6:7]
; %bb.10:
	v_add_u32_e32 v52, 30, v48
	v_add_u32_e32 v56, 60, v48
	;; [unrolled: 1-line block ×3, first 2 shown]
; %bb.11:
	s_or_saveexec_b64 s[2:3], s[2:3]
	v_cndmask_b32_e32 v0, 0, v1, vcc
	v_lshl_add_u64 v[50:51], v[2:3], 4, s[8:9]
	v_lshlrev_b32_e32 v46, 4, v0
	v_lshlrev_b32_e32 v53, 4, v48
	s_xor_b64 exec, exec, s[2:3]
	s_cbranch_execz .LBB0_13
; %bb.12:
	v_mov_b32_e32 v49, 0
	v_lshl_add_u64 v[40:41], v[48:49], 4, v[50:51]
	v_add_co_u32_e32 v42, vcc, 0x1000, v40
	global_load_dwordx4 v[0:3], v[40:41], off
	global_load_dwordx4 v[4:7], v[40:41], off offset:480
	global_load_dwordx4 v[8:11], v[40:41], off offset:960
	;; [unrolled: 1-line block ×7, first 2 shown]
	v_addc_co_u32_e32 v43, vcc, 0, v41, vcc
	global_load_dwordx4 v[32:35], v[40:41], off offset:3840
	global_load_dwordx4 v[36:39], v[42:43], off offset:224
	v_add3_u32 v40, 0, v46, v53
	v_add_u32_e32 v54, 0x5a, v48
	s_waitcnt vmcnt(9)
	ds_write_b128 v40, v[0:3]
	s_waitcnt vmcnt(8)
	ds_write_b128 v40, v[4:7] offset:480
	s_waitcnt vmcnt(7)
	ds_write_b128 v40, v[8:11] offset:960
	;; [unrolled: 2-line block ×9, first 2 shown]
.LBB0_13:
	s_or_b64 exec, exec, s[2:3]
	v_add_u32_e32 v49, 0, v46
	v_add_u32_e32 v60, v49, v53
	s_waitcnt lgkmcnt(0)
	; wave barrier
	s_waitcnt lgkmcnt(0)
	v_add3_u32 v55, 0, v53, v46
	ds_read_b128 v[0:3], v60
	ds_read_b128 v[4:7], v55 offset:480
	ds_read_b128 v[12:15], v55 offset:960
	;; [unrolled: 1-line block ×7, first 2 shown]
	s_waitcnt lgkmcnt(5)
	v_add_f64 v[32:33], v[0:1], v[12:13]
	s_waitcnt lgkmcnt(3)
	v_add_f64 v[36:37], v[32:33], v[16:17]
	v_add_f64 v[32:33], v[2:3], v[14:15]
	v_add_f64 v[58:59], v[32:33], v[18:19]
	ds_read_b128 v[32:35], v55 offset:3840
	s_waitcnt lgkmcnt(3)
	v_add_f64 v[38:39], v[16:17], v[20:21]
	v_add_f64 v[40:41], v[18:19], -v[22:23]
	v_add_f64 v[42:43], v[12:13], -v[16:17]
	v_add_f64 v[44:45], v[16:17], -v[12:13]
	v_add_f64 v[62:63], v[18:19], v[22:23]
	v_add_f64 v[64:65], v[16:17], -v[20:21]
	v_add_f64 v[66:67], v[14:15], -v[18:19]
	;; [unrolled: 1-line block ×3, first 2 shown]
	ds_read_b128 v[16:19], v55 offset:4320
	v_add_f64 v[36:37], v[36:37], v[20:21]
	s_waitcnt lgkmcnt(1)
	v_add_f64 v[72:73], v[12:13], v[32:33]
	v_add_f64 v[12:13], v[12:13], -v[32:33]
	v_add_f64 v[74:75], v[32:33], -v[20:21]
	;; [unrolled: 1-line block ×3, first 2 shown]
	v_add_f64 v[32:33], v[36:37], v[32:33]
	v_add_f64 v[36:37], v[4:5], v[8:9]
	;; [unrolled: 1-line block ×3, first 2 shown]
	s_mov_b32 s6, 0x134454ff
	v_add_f64 v[70:71], v[14:15], -v[34:35]
	v_add_f64 v[36:37], v[36:37], v[28:29]
	v_fma_f64 v[38:39], -0.5, v[38:39], v[0:1]
	s_mov_b32 s7, 0x3fee6f0e
	s_mov_b32 s2, 0x4755a5e
	;; [unrolled: 1-line block ×4, first 2 shown]
	v_add_f64 v[78:79], v[24:25], v[28:29]
	v_add_f64 v[82:83], v[8:9], -v[24:25]
	v_add_f64 v[84:85], v[24:25], -v[8:9]
	;; [unrolled: 1-line block ×3, first 2 shown]
	s_waitcnt lgkmcnt(0)
	v_add_f64 v[92:93], v[8:9], v[16:17]
	v_add_f64 v[8:9], v[8:9], -v[16:17]
	v_add_f64 v[94:95], v[16:17], -v[28:29]
	;; [unrolled: 1-line block ×3, first 2 shown]
	v_add_f64 v[16:17], v[36:37], v[16:17]
	v_add_f64 v[36:37], v[42:43], v[74:75]
	s_mov_b32 s3, 0x3fe2cf23
	v_fma_f64 v[42:43], s[6:7], v[70:71], v[38:39]
	s_mov_b32 s8, 0x372fe950
	v_fmac_f64_e32 v[38:39], s[12:13], v[70:71]
	s_mov_b32 s11, 0xbfe2cf23
	s_mov_b32 s10, s2
	v_add_f64 v[58:59], v[58:59], v[22:23]
	v_fmac_f64_e32 v[42:43], s[2:3], v[40:41]
	s_mov_b32 s9, 0x3fd3c6ef
	v_fmac_f64_e32 v[38:39], s[10:11], v[40:41]
	v_fmac_f64_e32 v[0:1], -0.5, v[72:73]
	v_add_f64 v[14:15], v[14:15], v[34:35]
	v_add_f64 v[76:77], v[34:35], -v[22:23]
	v_add_f64 v[22:23], v[22:23], -v[34:35]
	v_add_f64 v[34:35], v[58:59], v[34:35]
	v_add_f64 v[58:59], v[6:7], v[10:11]
	v_fmac_f64_e32 v[42:43], s[8:9], v[36:37]
	v_fmac_f64_e32 v[38:39], s[8:9], v[36:37]
	v_fma_f64 v[36:37], s[12:13], v[40:41], v[0:1]
	v_fmac_f64_e32 v[0:1], s[6:7], v[40:41]
	v_fma_f64 v[40:41], -0.5, v[62:63], v[2:3]
	v_add_f64 v[58:59], v[58:59], v[26:27]
	v_add_f64 v[20:21], v[44:45], v[20:21]
	v_fmac_f64_e32 v[36:37], s[2:3], v[70:71]
	v_fmac_f64_e32 v[0:1], s[10:11], v[70:71]
	v_fma_f64 v[44:45], s[12:13], v[12:13], v[40:41]
	v_fmac_f64_e32 v[40:41], s[6:7], v[12:13]
	v_add_f64 v[90:91], v[10:11], -v[18:19]
	v_add_f64 v[58:59], v[58:59], v[30:31]
	v_fmac_f64_e32 v[36:37], s[8:9], v[20:21]
	v_fmac_f64_e32 v[0:1], s[8:9], v[20:21]
	v_add_f64 v[20:21], v[66:67], v[76:77]
	v_fmac_f64_e32 v[44:45], s[10:11], v[64:65]
	v_fmac_f64_e32 v[40:41], s[2:3], v[64:65]
	v_fmac_f64_e32 v[2:3], -0.5, v[14:15]
	v_fma_f64 v[62:63], -0.5, v[78:79], v[4:5]
	v_add_f64 v[80:81], v[26:27], -v[30:31]
	v_add_f64 v[86:87], v[26:27], v[30:31]
	v_add_f64 v[88:89], v[10:11], -v[26:27]
	v_add_f64 v[26:27], v[26:27], -v[10:11]
	v_add_f64 v[10:11], v[10:11], v[18:19]
	v_add_f64 v[96:97], v[18:19], -v[30:31]
	v_add_f64 v[30:31], v[30:31], -v[18:19]
	v_add_f64 v[18:19], v[58:59], v[18:19]
	v_fmac_f64_e32 v[44:45], s[8:9], v[20:21]
	v_fmac_f64_e32 v[40:41], s[8:9], v[20:21]
	v_fma_f64 v[58:59], s[6:7], v[64:65], v[2:3]
	v_fmac_f64_e32 v[2:3], s[12:13], v[64:65]
	v_fma_f64 v[20:21], s[6:7], v[90:91], v[62:63]
	v_fmac_f64_e32 v[62:63], s[12:13], v[90:91]
	v_fmac_f64_e32 v[58:59], s[10:11], v[12:13]
	;; [unrolled: 1-line block ×3, first 2 shown]
	v_add_f64 v[12:13], v[82:83], v[94:95]
	v_fmac_f64_e32 v[20:21], s[2:3], v[80:81]
	v_fmac_f64_e32 v[62:63], s[10:11], v[80:81]
	v_fmac_f64_e32 v[4:5], -0.5, v[92:93]
	v_fmac_f64_e32 v[20:21], s[8:9], v[12:13]
	v_fmac_f64_e32 v[62:63], s[8:9], v[12:13]
	v_add_f64 v[12:13], v[84:85], v[28:29]
	v_fma_f64 v[28:29], s[12:13], v[80:81], v[4:5]
	v_fmac_f64_e32 v[4:5], s[6:7], v[80:81]
	v_fma_f64 v[64:65], -0.5, v[86:87], v[6:7]
	v_fmac_f64_e32 v[6:7], -0.5, v[10:11]
	v_fmac_f64_e32 v[4:5], s[10:11], v[90:91]
	v_add_f64 v[10:11], v[26:27], v[30:31]
	v_fma_f64 v[26:27], s[6:7], v[24:25], v[6:7]
	v_fmac_f64_e32 v[6:7], s[12:13], v[24:25]
	v_add_f64 v[14:15], v[68:69], v[22:23]
	v_fmac_f64_e32 v[28:29], s[2:3], v[90:91]
	v_fmac_f64_e32 v[4:5], s[8:9], v[12:13]
	v_fma_f64 v[22:23], s[12:13], v[8:9], v[64:65]
	v_fmac_f64_e32 v[6:7], s[2:3], v[8:9]
	v_fmac_f64_e32 v[28:29], s[8:9], v[12:13]
	v_add_f64 v[12:13], v[88:89], v[96:97]
	v_fmac_f64_e32 v[22:23], s[10:11], v[24:25]
	v_fmac_f64_e32 v[64:65], s[6:7], v[8:9]
	;; [unrolled: 1-line block ×4, first 2 shown]
	v_mul_f64 v[8:9], v[4:5], s[8:9]
	s_mov_b32 s14, 0x9b97f4a8
	v_fmac_f64_e32 v[22:23], s[8:9], v[12:13]
	v_fma_f64 v[8:9], v[6:7], s[6:7], -v[8:9]
	v_mul_f64 v[6:7], v[6:7], s[8:9]
	s_mov_b32 s15, 0x3fe9e377
	v_mul_f64 v[30:31], v[20:21], s[10:11]
	v_fmac_f64_e32 v[2:3], s[8:9], v[14:15]
	v_fmac_f64_e32 v[64:65], s[2:3], v[24:25]
	;; [unrolled: 1-line block ×3, first 2 shown]
	v_fma_f64 v[10:11], v[4:5], s[12:13], -v[6:7]
	v_mul_f64 v[24:25], v[20:21], s[14:15]
	v_fmac_f64_e32 v[30:31], s[14:15], v[22:23]
	v_fmac_f64_e32 v[58:59], s[8:9], v[14:15]
	;; [unrolled: 1-line block ×3, first 2 shown]
	v_add_f64 v[6:7], v[2:3], v[10:11]
	v_add_f64 v[2:3], v[2:3], -v[10:11]
	v_fmac_f64_e32 v[24:25], s[2:3], v[22:23]
	v_add_f64 v[10:11], v[34:35], v[18:19]
	v_add_f64 v[14:15], v[34:35], -v[18:19]
	v_add_f64 v[18:19], v[44:45], v[30:31]
	v_add_f64 v[22:23], v[44:45], -v[30:31]
	v_mul_f64 v[30:31], v[28:29], s[12:13]
	v_add_f64 v[4:5], v[0:1], v[8:9]
	v_add_f64 v[0:1], v[0:1], -v[8:9]
	v_add_f64 v[8:9], v[32:33], v[16:17]
	v_add_f64 v[12:13], v[32:33], -v[16:17]
	v_mul_f64 v[32:33], v[26:27], s[6:7]
	v_fmac_f64_e32 v[30:31], s[8:9], v[26:27]
	v_mul_f64 v[26:27], v[62:63], s[14:15]
	v_mul_f64 v[34:35], v[64:65], s[14:15]
	v_add_f64 v[16:17], v[42:43], v[24:25]
	v_fmac_f64_e32 v[32:33], s[8:9], v[28:29]
	v_add_f64 v[20:21], v[42:43], -v[24:25]
	v_fma_f64 v[42:43], v[64:65], s[2:3], -v[26:27]
	v_fma_f64 v[44:45], v[62:63], s[10:11], -v[34:35]
	s_movk_i32 s16, 0x90
	v_add_f64 v[24:25], v[36:37], v[32:33]
	v_add_f64 v[28:29], v[36:37], -v[32:33]
	v_add_f64 v[32:33], v[38:39], v[42:43]
	v_add_f64 v[34:35], v[40:41], v[44:45]
	v_add_f64 v[36:37], v[38:39], -v[42:43]
	v_add_f64 v[38:39], v[40:41], -v[44:45]
	v_mad_u32_u24 v40, v48, s16, v55
	s_movk_i32 s16, 0xcd
	v_add_f64 v[26:27], v[58:59], v[30:31]
	v_add_f64 v[30:31], v[58:59], -v[30:31]
	s_waitcnt lgkmcnt(0)
	; wave barrier
	ds_write_b128 v40, v[8:11]
	ds_write_b128 v40, v[16:19] offset:16
	ds_write_b128 v40, v[24:27] offset:32
	;; [unrolled: 1-line block ×9, first 2 shown]
	v_mul_lo_u16_sdwa v0, v48, s16 dst_sel:DWORD dst_unused:UNUSED_PAD src0_sel:BYTE_0 src1_sel:DWORD
	v_lshrrev_b16_e32 v47, 11, v0
	v_mul_lo_u16_e32 v0, 10, v47
	v_sub_u16_e32 v57, v48, v0
	v_mov_b32_e32 v0, 9
	v_mul_u32_u24_sdwa v0, v57, v0 dst_sel:DWORD dst_unused:UNUSED_PAD src0_sel:BYTE_0 src1_sel:DWORD
	v_lshlrev_b32_e32 v4, 4, v0
	s_waitcnt lgkmcnt(0)
	; wave barrier
	s_waitcnt lgkmcnt(0)
	global_load_dwordx4 v[0:3], v4, s[4:5]
	global_load_dwordx4 v[10:13], v4, s[4:5] offset:16
	global_load_dwordx4 v[14:17], v4, s[4:5] offset:32
	;; [unrolled: 1-line block ×8, first 2 shown]
	v_lshl_add_u32 v63, v52, 4, v49
	ds_read_b128 v[4:7], v63
	v_lshl_add_u32 v62, v56, 4, v49
	v_lshl_add_u32 v61, v54, 4, v49
	ds_read_b128 v[18:21], v62
	ds_read_b128 v[76:79], v55 offset:1920
	ds_read_b128 v[80:83], v55 offset:2400
	;; [unrolled: 1-line block ×3, first 2 shown]
	v_cmp_gt_u32_e32 vcc, 10, v48
	s_waitcnt vmcnt(8) lgkmcnt(4)
	v_mul_f64 v[8:9], v[6:7], v[2:3]
	v_mul_f64 v[34:35], v[4:5], v[2:3]
	v_fma_f64 v[32:33], v[4:5], v[0:1], -v[8:9]
	v_fmac_f64_e32 v[34:35], v[6:7], v[0:1]
	ds_read_b128 v[0:3], v61
	s_waitcnt vmcnt(7) lgkmcnt(4)
	v_mul_f64 v[4:5], v[20:21], v[12:13]
	v_fma_f64 v[8:9], v[18:19], v[10:11], -v[4:5]
	v_mul_f64 v[4:5], v[18:19], v[12:13]
	v_fmac_f64_e32 v[4:5], v[20:21], v[10:11]
	s_waitcnt vmcnt(6) lgkmcnt(0)
	v_mul_f64 v[6:7], v[2:3], v[16:17]
	v_fma_f64 v[10:11], v[0:1], v[14:15], -v[6:7]
	v_mul_f64 v[6:7], v[0:1], v[16:17]
	s_waitcnt vmcnt(5)
	v_mul_f64 v[12:13], v[78:79], v[24:25]
	v_mul_f64 v[16:17], v[76:77], v[24:25]
	v_fma_f64 v[20:21], v[76:77], v[22:23], -v[12:13]
	v_fmac_f64_e32 v[16:17], v[78:79], v[22:23]
	ds_read_b128 v[22:25], v55 offset:2880
	ds_read_b128 v[76:79], v55 offset:3360
	v_fmac_f64_e32 v[6:7], v[2:3], v[14:15]
	s_waitcnt vmcnt(4)
	v_mul_f64 v[12:13], v[82:83], v[28:29]
	v_mul_f64 v[14:15], v[80:81], v[28:29]
	v_fma_f64 v[18:19], v[80:81], v[26:27], -v[12:13]
	v_fmac_f64_e32 v[14:15], v[82:83], v[26:27]
	ds_read_b128 v[80:83], v55 offset:3840
	ds_read_b128 v[0:3], v60
	s_waitcnt vmcnt(3) lgkmcnt(3)
	v_mul_f64 v[12:13], v[24:25], v[38:39]
	v_fma_f64 v[30:31], v[22:23], v[36:37], -v[12:13]
	s_waitcnt vmcnt(2) lgkmcnt(2)
	v_mul_f64 v[12:13], v[78:79], v[42:43]
	v_mul_f64 v[26:27], v[22:23], v[38:39]
	v_fma_f64 v[28:29], v[76:77], v[40:41], -v[12:13]
	s_waitcnt vmcnt(1) lgkmcnt(1)
	v_mul_f64 v[12:13], v[82:83], v[66:67]
	v_fmac_f64_e32 v[26:27], v[24:25], v[36:37]
	v_mul_f64 v[24:25], v[76:77], v[42:43]
	v_fma_f64 v[42:43], v[80:81], v[64:65], -v[12:13]
	s_waitcnt vmcnt(0)
	v_mul_f64 v[12:13], v[74:75], v[70:71]
	v_fmac_f64_e32 v[24:25], v[78:79], v[40:41]
	v_mul_f64 v[38:39], v[80:81], v[66:67]
	v_fma_f64 v[40:41], v[72:73], v[68:69], -v[12:13]
	v_add_f64 v[12:13], v[20:21], v[30:31]
	v_add_f64 v[22:23], v[8:9], v[42:43]
	v_fmac_f64_e32 v[38:39], v[82:83], v[64:65]
	s_waitcnt lgkmcnt(0)
	v_fma_f64 v[12:13], -0.5, v[12:13], v[0:1]
	v_add_f64 v[58:59], v[0:1], v[8:9]
	v_fmac_f64_e32 v[0:1], -0.5, v[22:23]
	v_add_f64 v[22:23], v[20:21], -v[8:9]
	v_add_f64 v[44:45], v[30:31], -v[42:43]
	v_mul_f64 v[36:37], v[72:73], v[70:71]
	v_add_f64 v[44:45], v[22:23], v[44:45]
	v_add_f64 v[22:23], v[16:17], v[26:27]
	;; [unrolled: 1-line block ×3, first 2 shown]
	v_fmac_f64_e32 v[36:37], v[74:75], v[68:69]
	v_fma_f64 v[22:23], -0.5, v[22:23], v[2:3]
	v_add_f64 v[68:69], v[2:3], v[4:5]
	v_fmac_f64_e32 v[2:3], -0.5, v[64:65]
	v_add_f64 v[64:65], v[16:17], -v[4:5]
	v_add_f64 v[66:67], v[26:27], -v[38:39]
	v_add_f64 v[76:77], v[64:65], v[66:67]
	v_add_f64 v[64:65], v[18:19], v[28:29]
	v_fma_f64 v[78:79], -0.5, v[64:65], v[32:33]
	v_add_f64 v[64:65], v[10:11], v[40:41]
	v_add_f64 v[70:71], v[32:33], v[10:11]
	v_fmac_f64_e32 v[32:33], -0.5, v[64:65]
	v_add_f64 v[64:65], v[18:19], -v[10:11]
	v_add_f64 v[66:67], v[28:29], -v[40:41]
	v_add_f64 v[80:81], v[64:65], v[66:67]
	v_add_f64 v[64:65], v[14:15], v[24:25]
	v_fma_f64 v[82:83], -0.5, v[64:65], v[34:35]
	v_add_f64 v[64:65], v[6:7], v[36:37]
	v_add_f64 v[86:87], v[14:15], -v[24:25]
	v_add_f64 v[72:73], v[34:35], v[6:7]
	v_fmac_f64_e32 v[34:35], -0.5, v[64:65]
	v_fma_f64 v[88:89], s[12:13], v[86:87], v[32:33]
	v_fmac_f64_e32 v[32:33], s[6:7], v[86:87]
	v_add_f64 v[90:91], v[6:7], -v[36:37]
	v_add_f64 v[92:93], v[18:19], -v[28:29]
	;; [unrolled: 1-line block ×4, first 2 shown]
	v_fmac_f64_e32 v[32:33], s[10:11], v[90:91]
	v_fma_f64 v[94:95], s[6:7], v[92:93], v[34:35]
	v_fmac_f64_e32 v[34:35], s[12:13], v[92:93]
	v_add_f64 v[96:97], v[10:11], -v[40:41]
	v_add_f64 v[84:85], v[64:65], v[66:67]
	v_fmac_f64_e32 v[32:33], s[8:9], v[80:81]
	v_fmac_f64_e32 v[34:35], s[2:3], v[96:97]
	v_add_f64 v[98:99], v[16:17], -v[26:27]
	v_add_f64 v[104:105], v[20:21], -v[30:31]
	v_fmac_f64_e32 v[34:35], s[8:9], v[84:85]
	v_mul_f64 v[64:65], v[32:33], s[8:9]
	v_fma_f64 v[100:101], s[12:13], v[98:99], v[0:1]
	v_fmac_f64_e32 v[0:1], s[6:7], v[98:99]
	v_add_f64 v[102:103], v[4:5], -v[38:39]
	v_fma_f64 v[106:107], s[6:7], v[104:105], v[2:3]
	v_fmac_f64_e32 v[2:3], s[12:13], v[104:105]
	v_add_f64 v[108:109], v[8:9], -v[42:43]
	v_fma_f64 v[64:65], v[34:35], s[6:7], -v[64:65]
	v_mul_f64 v[34:35], v[34:35], s[8:9]
	v_fmac_f64_e32 v[0:1], s[10:11], v[102:103]
	v_fmac_f64_e32 v[2:3], s[2:3], v[108:109]
	v_fma_f64 v[66:67], v[32:33], s[12:13], -v[34:35]
	v_fmac_f64_e32 v[0:1], s[8:9], v[44:45]
	v_fmac_f64_e32 v[2:3], s[8:9], v[76:77]
	v_add_f64 v[32:33], v[0:1], v[64:65]
	v_add_f64 v[34:35], v[2:3], v[66:67]
	v_add_f64 v[64:65], v[0:1], -v[64:65]
	v_add_f64 v[66:67], v[2:3], -v[66:67]
	v_add_f64 v[0:1], v[58:59], v[20:21]
	v_add_f64 v[2:3], v[68:69], v[16:17]
	;; [unrolled: 1-line block ×14, first 2 shown]
	v_add_f64 v[72:73], v[0:1], -v[58:59]
	v_add_f64 v[74:75], v[2:3], -v[74:75]
	;; [unrolled: 1-line block ×4, first 2 shown]
	v_add_f64 v[0:1], v[0:1], v[2:3]
	v_add_f64 v[2:3], v[4:5], -v[16:17]
	v_add_f64 v[4:5], v[38:39], -v[26:27]
	v_add_f64 v[2:3], v[2:3], v[4:5]
	v_add_f64 v[4:5], v[10:11], -v[18:19]
	v_add_f64 v[8:9], v[40:41], -v[28:29]
	;; [unrolled: 3-line block ×3, first 2 shown]
	v_add_f64 v[24:25], v[4:5], v[6:7]
	v_fma_f64 v[4:5], s[6:7], v[90:91], v[78:79]
	v_fmac_f64_e32 v[78:79], s[12:13], v[90:91]
	v_fma_f64 v[6:7], s[12:13], v[96:97], v[82:83]
	v_fma_f64 v[14:15], s[6:7], v[102:103], v[12:13]
	v_fmac_f64_e32 v[12:13], s[12:13], v[102:103]
	v_fmac_f64_e32 v[78:79], s[10:11], v[86:87]
	;; [unrolled: 1-line block ×10, first 2 shown]
	v_fma_f64 v[16:17], s[12:13], v[108:109], v[22:23]
	v_fmac_f64_e32 v[88:89], s[2:3], v[90:91]
	v_fmac_f64_e32 v[94:95], s[10:11], v[96:97]
	;; [unrolled: 1-line block ×5, first 2 shown]
	v_mul_f64 v[0:1], v[78:79], s[14:15]
	v_fmac_f64_e32 v[4:5], s[8:9], v[26:27]
	v_fmac_f64_e32 v[6:7], s[8:9], v[24:25]
	v_fmac_f64_e32 v[16:17], s[10:11], v[104:105]
	v_fmac_f64_e32 v[88:89], s[8:9], v[80:81]
	v_fmac_f64_e32 v[94:95], s[8:9], v[84:85]
	v_fmac_f64_e32 v[22:23], s[2:3], v[104:105]
	v_fma_f64 v[0:1], v[82:83], s[2:3], -v[0:1]
	v_mul_f64 v[8:9], v[6:7], s[2:3]
	v_mul_f64 v[10:11], v[4:5], s[10:11]
	v_fmac_f64_e32 v[16:17], s[8:9], v[2:3]
	v_fmac_f64_e32 v[100:101], s[2:3], v[102:103]
	;; [unrolled: 1-line block ×3, first 2 shown]
	v_mul_f64 v[18:19], v[94:95], s[6:7]
	v_mul_f64 v[20:21], v[88:89], s[12:13]
	v_fmac_f64_e32 v[22:23], s[8:9], v[2:3]
	v_mul_f64 v[2:3], v[82:83], s[14:15]
	v_add_f64 v[24:25], v[12:13], v[0:1]
	v_add_f64 v[0:1], v[12:13], -v[0:1]
	s_movk_i32 s2, 0x640
	v_mov_b32_e32 v13, 4
	v_fmac_f64_e32 v[8:9], s[14:15], v[4:5]
	v_fmac_f64_e32 v[10:11], s[14:15], v[6:7]
	v_fmac_f64_e32 v[100:101], s[8:9], v[44:45]
	v_fmac_f64_e32 v[106:107], s[8:9], v[76:77]
	v_fmac_f64_e32 v[18:19], s[8:9], v[88:89]
	v_fmac_f64_e32 v[20:21], s[8:9], v[94:95]
	v_fma_f64 v[2:3], v[78:79], s[10:11], -v[2:3]
	v_mad_u32_u24 v12, v47, s2, 0
	v_lshlrev_b32_sdwa v13, v13, v57 dst_sel:DWORD dst_unused:UNUSED_PAD src0_sel:DWORD src1_sel:BYTE_0
	v_add_f64 v[4:5], v[14:15], v[8:9]
	v_add_f64 v[6:7], v[16:17], v[10:11]
	v_add_f64 v[8:9], v[14:15], -v[8:9]
	v_add_f64 v[10:11], v[16:17], -v[10:11]
	v_add_f64 v[14:15], v[100:101], v[18:19]
	v_add_f64 v[16:17], v[106:107], v[20:21]
	v_add_f64 v[18:19], v[100:101], -v[18:19]
	v_add_f64 v[20:21], v[106:107], -v[20:21]
	v_add_f64 v[26:27], v[22:23], v[2:3]
	v_add3_u32 v12, v12, v13, v46
	v_add_f64 v[2:3], v[22:23], -v[2:3]
	s_waitcnt lgkmcnt(0)
	; wave barrier
	ds_write_b128 v12, v[68:71]
	ds_write_b128 v12, v[4:7] offset:160
	ds_write_b128 v12, v[14:17] offset:320
	ds_write_b128 v12, v[32:35] offset:480
	ds_write_b128 v12, v[24:27] offset:640
	ds_write_b128 v12, v[72:75] offset:800
	ds_write_b128 v12, v[8:11] offset:960
	ds_write_b128 v12, v[18:21] offset:1120
	ds_write_b128 v12, v[64:67] offset:1280
	ds_write_b128 v12, v[0:3] offset:1440
	s_waitcnt lgkmcnt(0)
	; wave barrier
	s_waitcnt lgkmcnt(0)
	ds_read_b128 v[20:23], v60
	ds_read_b128 v[44:47], v55 offset:1600
	ds_read_b128 v[40:43], v55 offset:3200
	;; [unrolled: 1-line block ×3, first 2 shown]
	ds_read_b128 v[12:15], v62
	ds_read_b128 v[36:39], v55 offset:2080
	ds_read_b128 v[24:27], v55 offset:2560
	ds_read_b128 v[16:19], v63
	ds_read_b128 v[28:31], v55 offset:4160
                                        ; implicit-def: $vgpr10_vgpr11
                                        ; implicit-def: $vgpr6_vgpr7
	s_and_saveexec_b64 s[2:3], vcc
	s_cbranch_execz .LBB0_15
; %bb.14:
	ds_read_b128 v[0:3], v61
	ds_read_b128 v[4:7], v55 offset:3040
	ds_read_b128 v[8:11], v55 offset:4640
.LBB0_15:
	s_or_b64 exec, exec, s[2:3]
	v_lshlrev_b32_e32 v58, 1, v48
	v_mov_b32_e32 v59, 0
	v_lshl_add_u64 v[72:73], v[58:59], 4, s[4:5]
	v_lshlrev_b32_e32 v58, 1, v52
	global_load_dwordx4 v[64:67], v[72:73], off offset:1440
	global_load_dwordx4 v[68:71], v[72:73], off offset:1456
	v_lshl_add_u64 v[80:81], v[58:59], 4, s[4:5]
	v_lshlrev_b32_e32 v58, 1, v56
	global_load_dwordx4 v[72:75], v[80:81], off offset:1440
	global_load_dwordx4 v[76:79], v[80:81], off offset:1456
	v_lshl_add_u64 v[88:89], v[58:59], 4, s[4:5]
	global_load_dwordx4 v[80:83], v[88:89], off offset:1440
	global_load_dwordx4 v[84:87], v[88:89], off offset:1456
	s_mov_b32 s2, 0xe8584caa
	s_mov_b32 s3, 0x3febb67a
	;; [unrolled: 1-line block ×4, first 2 shown]
	s_waitcnt lgkmcnt(0)
	; wave barrier
	s_waitcnt vmcnt(5) lgkmcnt(0)
	v_mul_f64 v[88:89], v[46:47], v[66:67]
	v_mul_f64 v[66:67], v[44:45], v[66:67]
	s_waitcnt vmcnt(4)
	v_mul_f64 v[90:91], v[42:43], v[70:71]
	v_mul_f64 v[70:71], v[40:41], v[70:71]
	v_fma_f64 v[44:45], v[44:45], v[64:65], -v[88:89]
	v_fmac_f64_e32 v[66:67], v[46:47], v[64:65]
	v_fma_f64 v[40:41], v[40:41], v[68:69], -v[90:91]
	v_fmac_f64_e32 v[70:71], v[42:43], v[68:69]
	s_waitcnt vmcnt(3)
	v_mul_f64 v[42:43], v[38:39], v[74:75]
	v_mul_f64 v[46:47], v[36:37], v[74:75]
	s_waitcnt vmcnt(2)
	v_mul_f64 v[64:65], v[34:35], v[78:79]
	v_mul_f64 v[68:69], v[32:33], v[78:79]
	v_fma_f64 v[36:37], v[36:37], v[72:73], -v[42:43]
	v_fmac_f64_e32 v[46:47], v[38:39], v[72:73]
	v_fma_f64 v[32:33], v[32:33], v[76:77], -v[64:65]
	v_fmac_f64_e32 v[68:69], v[34:35], v[76:77]
	s_waitcnt vmcnt(1)
	v_mul_f64 v[34:35], v[26:27], v[82:83]
	v_mul_f64 v[38:39], v[24:25], v[82:83]
	s_waitcnt vmcnt(0)
	v_mul_f64 v[42:43], v[30:31], v[86:87]
	v_mul_f64 v[64:65], v[28:29], v[86:87]
	v_add_f64 v[72:73], v[20:21], v[44:45]
	v_add_f64 v[76:77], v[66:67], -v[70:71]
	v_add_f64 v[78:79], v[22:23], v[66:67]
	v_add_f64 v[66:67], v[66:67], v[70:71]
	;; [unrolled: 1-line block ×3, first 2 shown]
	v_add_f64 v[44:45], v[44:45], -v[40:41]
	v_fma_f64 v[82:83], v[24:25], v[80:81], -v[34:35]
	v_fmac_f64_e32 v[38:39], v[26:27], v[80:81]
	v_fma_f64 v[42:43], v[28:29], v[84:85], -v[42:43]
	v_fmac_f64_e32 v[64:65], v[30:31], v[84:85]
	v_add_f64 v[24:25], v[72:73], v[40:41]
	v_add_f64 v[26:27], v[78:79], v[70:71]
	v_fmac_f64_e32 v[22:23], -0.5, v[66:67]
	v_add_f64 v[34:35], v[16:17], v[36:37]
	v_add_f64 v[40:41], v[36:37], v[32:33]
	v_add_f64 v[66:67], v[46:47], -v[68:69]
	v_add_f64 v[70:71], v[18:19], v[46:47]
	v_add_f64 v[46:47], v[46:47], v[68:69]
	v_fmac_f64_e32 v[20:21], -0.5, v[74:75]
	v_add_f64 v[36:37], v[36:37], -v[32:33]
	v_fma_f64 v[30:31], s[6:7], v[44:45], v[22:23]
	v_fmac_f64_e32 v[22:23], s[2:3], v[44:45]
	v_add_f64 v[32:33], v[34:35], v[32:33]
	v_fmac_f64_e32 v[16:17], -0.5, v[40:41]
	v_add_f64 v[34:35], v[70:71], v[68:69]
	v_fmac_f64_e32 v[18:19], -0.5, v[46:47]
	v_add_f64 v[44:45], v[82:83], v[42:43]
	v_add_f64 v[70:71], v[38:39], v[64:65]
	v_fma_f64 v[28:29], s[2:3], v[76:77], v[20:21]
	v_fmac_f64_e32 v[20:21], s[6:7], v[76:77]
	v_add_f64 v[40:41], v[12:13], v[82:83]
	v_add_f64 v[46:47], v[38:39], -v[64:65]
	v_add_f64 v[68:69], v[14:15], v[38:39]
	v_add_f64 v[72:73], v[82:83], -v[42:43]
	ds_write_b128 v55, v[24:27]
	v_fma_f64 v[24:25], s[2:3], v[66:67], v[16:17]
	v_fma_f64 v[26:27], s[6:7], v[36:37], v[18:19]
	v_fmac_f64_e32 v[12:13], -0.5, v[44:45]
	v_fmac_f64_e32 v[14:15], -0.5, v[70:71]
	v_fmac_f64_e32 v[16:17], s[6:7], v[66:67]
	v_fmac_f64_e32 v[18:19], s[2:3], v[36:37]
	v_add_f64 v[36:37], v[40:41], v[42:43]
	v_add_f64 v[38:39], v[68:69], v[64:65]
	ds_write_b128 v55, v[28:31] offset:1600
	ds_write_b128 v55, v[20:23] offset:3200
	ds_write_b128 v63, v[32:35]
	v_fma_f64 v[20:21], s[2:3], v[46:47], v[12:13]
	v_fmac_f64_e32 v[12:13], s[6:7], v[46:47]
	v_fma_f64 v[22:23], s[6:7], v[72:73], v[14:15]
	v_fmac_f64_e32 v[14:15], s[2:3], v[72:73]
	ds_write_b128 v63, v[24:27] offset:1600
	ds_write_b128 v63, v[16:19] offset:3200
	ds_write_b128 v62, v[36:39]
	ds_write_b128 v62, v[20:23] offset:1600
	ds_write_b128 v62, v[12:15] offset:3200
	s_and_saveexec_b64 s[8:9], vcc
	s_cbranch_execz .LBB0_17
; %bb.16:
	v_add_u32_e32 v12, -10, v48
	v_cndmask_b32_e32 v12, v12, v54, vcc
	v_lshlrev_b32_e32 v58, 1, v12
	v_lshl_add_u64 v[20:21], v[58:59], 4, s[4:5]
	global_load_dwordx4 v[12:15], v[20:21], off offset:1440
	global_load_dwordx4 v[16:19], v[20:21], off offset:1456
	s_waitcnt vmcnt(1)
	v_mul_f64 v[20:21], v[6:7], v[14:15]
	s_waitcnt vmcnt(0)
	v_mul_f64 v[22:23], v[10:11], v[18:19]
	v_mul_f64 v[14:15], v[4:5], v[14:15]
	;; [unrolled: 1-line block ×3, first 2 shown]
	v_fma_f64 v[4:5], v[4:5], v[12:13], -v[20:21]
	v_fma_f64 v[8:9], v[8:9], v[16:17], -v[22:23]
	v_fmac_f64_e32 v[14:15], v[6:7], v[12:13]
	v_fmac_f64_e32 v[18:19], v[10:11], v[16:17]
	v_add_f64 v[12:13], v[4:5], -v[8:9]
	v_add_f64 v[6:7], v[14:15], v[18:19]
	v_add_f64 v[10:11], v[2:3], v[14:15]
	;; [unrolled: 1-line block ×4, first 2 shown]
	v_add_f64 v[14:15], v[14:15], -v[18:19]
	v_fma_f64 v[2:3], -0.5, v[6:7], v[2:3]
	v_add_f64 v[6:7], v[10:11], v[18:19]
	v_fma_f64 v[0:1], -0.5, v[16:17], v[0:1]
	v_add_f64 v[4:5], v[4:5], v[8:9]
	v_fma_f64 v[10:11], s[2:3], v[12:13], v[2:3]
	v_fmac_f64_e32 v[2:3], s[6:7], v[12:13]
	v_fma_f64 v[8:9], s[6:7], v[14:15], v[0:1]
	v_fmac_f64_e32 v[0:1], s[2:3], v[14:15]
	ds_write_b128 v55, v[4:7] offset:1440
	ds_write_b128 v55, v[0:3] offset:3040
	ds_write_b128 v55, v[8:11] offset:4640
.LBB0_17:
	s_or_b64 exec, exec, s[8:9]
	s_waitcnt lgkmcnt(0)
	; wave barrier
	s_waitcnt lgkmcnt(0)
	ds_read_b128 v[4:7], v60
	s_add_u32 s2, s4, 0x1220
	s_addc_u32 s3, s5, 0
	v_sub_u32_e32 v14, v49, v53
	v_cmp_ne_u32_e32 vcc, 0, v48
                                        ; implicit-def: $vgpr0_vgpr1
                                        ; implicit-def: $vgpr10_vgpr11
                                        ; implicit-def: $vgpr12_vgpr13
                                        ; implicit-def: $vgpr8_vgpr9
	s_and_saveexec_b64 s[4:5], vcc
	s_xor_b64 s[4:5], exec, s[4:5]
	s_cbranch_execz .LBB0_19
; %bb.18:
	v_mov_b32_e32 v49, 0
	v_lshl_add_u64 v[0:1], v[48:49], 4, s[2:3]
	global_load_dwordx4 v[0:3], v[0:1], off
	ds_read_b128 v[8:11], v14 offset:4800
	s_waitcnt lgkmcnt(0)
	v_add_f64 v[16:17], v[4:5], v[8:9]
	v_add_f64 v[4:5], v[4:5], -v[8:9]
	v_add_f64 v[12:13], v[6:7], v[10:11]
	v_add_f64 v[6:7], v[6:7], -v[10:11]
	v_mul_f64 v[4:5], v[4:5], 0.5
	v_mul_f64 v[8:9], v[12:13], 0.5
	;; [unrolled: 1-line block ×3, first 2 shown]
	s_waitcnt vmcnt(0)
	v_mul_f64 v[18:19], v[4:5], v[2:3]
	v_fma_f64 v[12:13], v[8:9], v[2:3], v[6:7]
	v_fma_f64 v[2:3], v[8:9], v[2:3], -v[6:7]
	v_fma_f64 v[10:11], 0.5, v[16:17], v[18:19]
	v_fma_f64 v[6:7], v[16:17], 0.5, -v[18:19]
	v_fma_f64 v[12:13], -v[0:1], v[4:5], v[12:13]
	v_fma_f64 v[2:3], -v[0:1], v[4:5], v[2:3]
	v_fmac_f64_e32 v[10:11], v[8:9], v[0:1]
	v_fma_f64 v[0:1], -v[8:9], v[0:1], v[6:7]
	v_mov_b64_e32 v[8:9], v[48:49]
                                        ; implicit-def: $vgpr4_vgpr5
                                        ; implicit-def: $vgpr49
.LBB0_19:
	s_andn2_saveexec_b64 s[4:5], s[4:5]
	s_cbranch_execz .LBB0_21
; %bb.20:
	ds_read_b64 v[2:3], v49 offset:2408
	v_mov_b64_e32 v[12:13], 0
	s_waitcnt lgkmcnt(1)
	v_add_f64 v[10:11], v[4:5], v[6:7]
	v_add_f64 v[0:1], v[4:5], -v[6:7]
	v_mov_b64_e32 v[8:9], 0
	s_waitcnt lgkmcnt(0)
	v_xor_b32_e32 v3, 0x80000000, v3
	ds_write_b64 v49, v[2:3] offset:2408
	v_mov_b64_e32 v[2:3], v[12:13]
.LBB0_21:
	s_or_b64 exec, exec, s[4:5]
	v_mov_b32_e32 v53, 0
	s_waitcnt lgkmcnt(0)
	v_lshl_add_u64 v[4:5], v[52:53], 4, s[2:3]
	global_load_dwordx4 v[4:7], v[4:5], off
	v_mov_b32_e32 v57, v53
	v_lshl_add_u64 v[16:17], v[56:57], 4, s[2:3]
	global_load_dwordx4 v[16:19], v[16:17], off
	v_mov_b32_e32 v55, v53
	v_lshl_add_u64 v[20:21], v[54:55], 4, s[2:3]
	global_load_dwordx4 v[20:23], v[20:21], off
	ds_write2_b64 v60, v[10:11], v[12:13] offset1:1
	ds_write_b128 v14, v[0:3] offset:4800
	v_lshl_add_u64 v[24:25], v[8:9], 4, s[2:3]
	ds_read_b128 v[0:3], v63
	ds_read_b128 v[10:13], v14 offset:4320
	global_load_dwordx4 v[24:27], v[24:25], off offset:1920
	s_waitcnt lgkmcnt(0)
	v_add_f64 v[28:29], v[0:1], v[10:11]
	v_add_f64 v[0:1], v[0:1], -v[10:11]
	v_add_f64 v[30:31], v[2:3], v[12:13]
	v_add_f64 v[2:3], v[2:3], -v[12:13]
	v_mul_f64 v[0:1], v[0:1], 0.5
	v_mul_f64 v[10:11], v[30:31], 0.5
	;; [unrolled: 1-line block ×3, first 2 shown]
	s_waitcnt vmcnt(3)
	v_mul_f64 v[12:13], v[0:1], v[6:7]
	v_fma_f64 v[30:31], v[10:11], v[6:7], v[2:3]
	v_fma_f64 v[2:3], v[10:11], v[6:7], -v[2:3]
	v_fma_f64 v[6:7], 0.5, v[28:29], v[12:13]
	v_fma_f64 v[30:31], -v[4:5], v[0:1], v[30:31]
	v_fma_f64 v[12:13], v[28:29], 0.5, -v[12:13]
	v_fmac_f64_e32 v[6:7], v[10:11], v[4:5]
	v_fma_f64 v[2:3], -v[4:5], v[0:1], v[2:3]
	v_fma_f64 v[0:1], -v[10:11], v[4:5], v[12:13]
	ds_write2_b64 v63, v[6:7], v[30:31] offset1:1
	ds_write_b128 v14, v[0:3] offset:4320
	ds_read_b128 v[0:3], v62
	ds_read_b128 v[4:7], v14 offset:3840
	s_waitcnt lgkmcnt(0)
	v_add_f64 v[10:11], v[0:1], v[4:5]
	v_add_f64 v[0:1], v[0:1], -v[4:5]
	v_add_f64 v[12:13], v[2:3], v[6:7]
	v_add_f64 v[2:3], v[2:3], -v[6:7]
	v_mul_f64 v[0:1], v[0:1], 0.5
	v_mul_f64 v[4:5], v[12:13], 0.5
	;; [unrolled: 1-line block ×3, first 2 shown]
	s_waitcnt vmcnt(2)
	v_mul_f64 v[6:7], v[0:1], v[18:19]
	v_fma_f64 v[12:13], v[4:5], v[18:19], v[2:3]
	v_fma_f64 v[2:3], v[4:5], v[18:19], -v[2:3]
	v_fma_f64 v[18:19], 0.5, v[10:11], v[6:7]
	v_fma_f64 v[12:13], -v[16:17], v[0:1], v[12:13]
	v_fma_f64 v[6:7], v[10:11], 0.5, -v[6:7]
	v_fmac_f64_e32 v[18:19], v[4:5], v[16:17]
	v_fma_f64 v[2:3], -v[16:17], v[0:1], v[2:3]
	v_fma_f64 v[0:1], -v[4:5], v[16:17], v[6:7]
	ds_write2_b64 v62, v[18:19], v[12:13] offset1:1
	ds_write_b128 v14, v[0:3] offset:3840
	ds_read_b128 v[0:3], v61
	ds_read_b128 v[4:7], v14 offset:3360
	s_waitcnt lgkmcnt(0)
	v_add_f64 v[10:11], v[0:1], v[4:5]
	v_add_f64 v[0:1], v[0:1], -v[4:5]
	v_add_f64 v[12:13], v[2:3], v[6:7]
	v_add_f64 v[2:3], v[2:3], -v[6:7]
	v_mul_f64 v[0:1], v[0:1], 0.5
	v_mul_f64 v[4:5], v[12:13], 0.5
	;; [unrolled: 1-line block ×3, first 2 shown]
	s_waitcnt vmcnt(1)
	v_mul_f64 v[6:7], v[0:1], v[22:23]
	v_fma_f64 v[12:13], v[4:5], v[22:23], v[2:3]
	v_fma_f64 v[16:17], 0.5, v[10:11], v[6:7]
	v_fma_f64 v[2:3], v[4:5], v[22:23], -v[2:3]
	v_fma_f64 v[12:13], -v[20:21], v[0:1], v[12:13]
	v_fma_f64 v[6:7], v[10:11], 0.5, -v[6:7]
	v_fmac_f64_e32 v[16:17], v[4:5], v[20:21]
	v_fma_f64 v[2:3], -v[20:21], v[0:1], v[2:3]
	v_fma_f64 v[0:1], -v[4:5], v[20:21], v[6:7]
	ds_write2_b64 v61, v[16:17], v[12:13] offset1:1
	ds_write_b128 v14, v[0:3] offset:3360
	ds_read_b128 v[0:3], v60 offset:1920
	ds_read_b128 v[4:7], v14 offset:2880
	s_waitcnt lgkmcnt(0)
	v_add_f64 v[10:11], v[0:1], v[4:5]
	v_add_f64 v[0:1], v[0:1], -v[4:5]
	v_add_f64 v[12:13], v[2:3], v[6:7]
	v_add_f64 v[2:3], v[2:3], -v[6:7]
	v_mul_f64 v[0:1], v[0:1], 0.5
	v_mul_f64 v[4:5], v[12:13], 0.5
	;; [unrolled: 1-line block ×3, first 2 shown]
	s_waitcnt vmcnt(0)
	v_mul_f64 v[6:7], v[0:1], v[26:27]
	v_fma_f64 v[12:13], v[4:5], v[26:27], v[2:3]
	v_fma_f64 v[16:17], 0.5, v[10:11], v[6:7]
	v_fma_f64 v[2:3], v[4:5], v[26:27], -v[2:3]
	v_fma_f64 v[12:13], -v[24:25], v[0:1], v[12:13]
	v_fma_f64 v[6:7], v[10:11], 0.5, -v[6:7]
	v_fmac_f64_e32 v[16:17], v[4:5], v[24:25]
	v_fma_f64 v[2:3], -v[24:25], v[0:1], v[2:3]
	v_fma_f64 v[0:1], -v[4:5], v[24:25], v[6:7]
	ds_write2_b64 v60, v[16:17], v[12:13] offset0:240 offset1:241
	ds_write_b128 v14, v[0:3] offset:2880
	s_waitcnt lgkmcnt(0)
	; wave barrier
	s_waitcnt lgkmcnt(0)
	s_and_saveexec_b64 s[2:3], s[0:1]
	s_cbranch_execz .LBB0_24
; %bb.22:
	ds_read_b128 v[0:3], v60
	ds_read_b128 v[4:7], v60 offset:480
	ds_read_b128 v[10:13], v60 offset:960
	;; [unrolled: 1-line block ×3, first 2 shown]
	v_lshl_add_u64 v[18:19], v[8:9], 4, v[50:51]
	s_waitcnt lgkmcnt(3)
	global_store_dwordx4 v[18:19], v[0:3], off
	s_waitcnt lgkmcnt(2)
	global_store_dwordx4 v[18:19], v[4:7], off offset:480
	s_waitcnt lgkmcnt(1)
	global_store_dwordx4 v[18:19], v[10:13], off offset:960
	ds_read_b128 v[0:3], v60 offset:1920
	s_waitcnt lgkmcnt(1)
	global_store_dwordx4 v[18:19], v[14:17], off offset:1440
	ds_read_b128 v[4:7], v60 offset:2400
	ds_read_b128 v[8:11], v60 offset:2880
	;; [unrolled: 1-line block ×3, first 2 shown]
	s_waitcnt lgkmcnt(3)
	global_store_dwordx4 v[18:19], v[0:3], off offset:1920
	ds_read_b128 v[0:3], v60 offset:3840
	s_waitcnt lgkmcnt(3)
	global_store_dwordx4 v[18:19], v[4:7], off offset:2400
	s_waitcnt lgkmcnt(2)
	global_store_dwordx4 v[18:19], v[8:11], off offset:2880
	;; [unrolled: 2-line block ×3, first 2 shown]
	ds_read_b128 v[4:7], v60 offset:4320
	s_waitcnt lgkmcnt(1)
	global_store_dwordx4 v[18:19], v[0:3], off offset:3840
	s_nop 1
	v_add_co_u32_e32 v0, vcc, 0x1000, v18
	s_nop 1
	v_addc_co_u32_e32 v1, vcc, 0, v19, vcc
	v_cmp_eq_u32_e32 vcc, 29, v48
	s_waitcnt lgkmcnt(0)
	global_store_dwordx4 v[0:1], v[4:7], off offset:224
	s_and_b64 exec, exec, vcc
	s_cbranch_execz .LBB0_24
; %bb.23:
	ds_read_b128 v[0:3], v60 offset:4336
	v_add_co_u32_e32 v4, vcc, 0x1000, v50
	s_nop 1
	v_addc_co_u32_e32 v5, vcc, 0, v51, vcc
	s_waitcnt lgkmcnt(0)
	global_store_dwordx4 v[4:5], v[0:3], off offset:704
.LBB0_24:
	s_endpgm
	.section	.rodata,"a",@progbits
	.p2align	6, 0x0
	.amdhsa_kernel fft_rtc_fwd_len300_factors_10_10_3_wgs_60_tpt_30_halfLds_dp_ip_CI_unitstride_sbrr_R2C_dirReg
		.amdhsa_group_segment_fixed_size 0
		.amdhsa_private_segment_fixed_size 0
		.amdhsa_kernarg_size 88
		.amdhsa_user_sgpr_count 2
		.amdhsa_user_sgpr_dispatch_ptr 0
		.amdhsa_user_sgpr_queue_ptr 0
		.amdhsa_user_sgpr_kernarg_segment_ptr 1
		.amdhsa_user_sgpr_dispatch_id 0
		.amdhsa_user_sgpr_kernarg_preload_length 0
		.amdhsa_user_sgpr_kernarg_preload_offset 0
		.amdhsa_user_sgpr_private_segment_size 0
		.amdhsa_uses_dynamic_stack 0
		.amdhsa_enable_private_segment 0
		.amdhsa_system_sgpr_workgroup_id_x 1
		.amdhsa_system_sgpr_workgroup_id_y 0
		.amdhsa_system_sgpr_workgroup_id_z 0
		.amdhsa_system_sgpr_workgroup_info 0
		.amdhsa_system_vgpr_workitem_id 0
		.amdhsa_next_free_vgpr 110
		.amdhsa_next_free_sgpr 22
		.amdhsa_accum_offset 112
		.amdhsa_reserve_vcc 1
		.amdhsa_float_round_mode_32 0
		.amdhsa_float_round_mode_16_64 0
		.amdhsa_float_denorm_mode_32 3
		.amdhsa_float_denorm_mode_16_64 3
		.amdhsa_dx10_clamp 1
		.amdhsa_ieee_mode 1
		.amdhsa_fp16_overflow 0
		.amdhsa_tg_split 0
		.amdhsa_exception_fp_ieee_invalid_op 0
		.amdhsa_exception_fp_denorm_src 0
		.amdhsa_exception_fp_ieee_div_zero 0
		.amdhsa_exception_fp_ieee_overflow 0
		.amdhsa_exception_fp_ieee_underflow 0
		.amdhsa_exception_fp_ieee_inexact 0
		.amdhsa_exception_int_div_zero 0
	.end_amdhsa_kernel
	.text
.Lfunc_end0:
	.size	fft_rtc_fwd_len300_factors_10_10_3_wgs_60_tpt_30_halfLds_dp_ip_CI_unitstride_sbrr_R2C_dirReg, .Lfunc_end0-fft_rtc_fwd_len300_factors_10_10_3_wgs_60_tpt_30_halfLds_dp_ip_CI_unitstride_sbrr_R2C_dirReg
                                        ; -- End function
	.section	.AMDGPU.csdata,"",@progbits
; Kernel info:
; codeLenInByte = 6808
; NumSgprs: 28
; NumVgprs: 110
; NumAgprs: 0
; TotalNumVgprs: 110
; ScratchSize: 0
; MemoryBound: 0
; FloatMode: 240
; IeeeMode: 1
; LDSByteSize: 0 bytes/workgroup (compile time only)
; SGPRBlocks: 3
; VGPRBlocks: 13
; NumSGPRsForWavesPerEU: 28
; NumVGPRsForWavesPerEU: 110
; AccumOffset: 112
; Occupancy: 4
; WaveLimiterHint : 1
; COMPUTE_PGM_RSRC2:SCRATCH_EN: 0
; COMPUTE_PGM_RSRC2:USER_SGPR: 2
; COMPUTE_PGM_RSRC2:TRAP_HANDLER: 0
; COMPUTE_PGM_RSRC2:TGID_X_EN: 1
; COMPUTE_PGM_RSRC2:TGID_Y_EN: 0
; COMPUTE_PGM_RSRC2:TGID_Z_EN: 0
; COMPUTE_PGM_RSRC2:TIDIG_COMP_CNT: 0
; COMPUTE_PGM_RSRC3_GFX90A:ACCUM_OFFSET: 27
; COMPUTE_PGM_RSRC3_GFX90A:TG_SPLIT: 0
	.text
	.p2alignl 6, 3212836864
	.fill 256, 4, 3212836864
	.type	__hip_cuid_af02fbf51aa32c08,@object ; @__hip_cuid_af02fbf51aa32c08
	.section	.bss,"aw",@nobits
	.globl	__hip_cuid_af02fbf51aa32c08
__hip_cuid_af02fbf51aa32c08:
	.byte	0                               ; 0x0
	.size	__hip_cuid_af02fbf51aa32c08, 1

	.ident	"AMD clang version 19.0.0git (https://github.com/RadeonOpenCompute/llvm-project roc-6.4.0 25133 c7fe45cf4b819c5991fe208aaa96edf142730f1d)"
	.section	".note.GNU-stack","",@progbits
	.addrsig
	.addrsig_sym __hip_cuid_af02fbf51aa32c08
	.amdgpu_metadata
---
amdhsa.kernels:
  - .agpr_count:     0
    .args:
      - .actual_access:  read_only
        .address_space:  global
        .offset:         0
        .size:           8
        .value_kind:     global_buffer
      - .offset:         8
        .size:           8
        .value_kind:     by_value
      - .actual_access:  read_only
        .address_space:  global
        .offset:         16
        .size:           8
        .value_kind:     global_buffer
      - .actual_access:  read_only
        .address_space:  global
        .offset:         24
        .size:           8
        .value_kind:     global_buffer
      - .offset:         32
        .size:           8
        .value_kind:     by_value
      - .actual_access:  read_only
        .address_space:  global
        .offset:         40
        .size:           8
        .value_kind:     global_buffer
      - .actual_access:  read_only
        .address_space:  global
        .offset:         48
        .size:           8
        .value_kind:     global_buffer
      - .offset:         56
        .size:           4
        .value_kind:     by_value
      - .actual_access:  read_only
        .address_space:  global
        .offset:         64
        .size:           8
        .value_kind:     global_buffer
      - .actual_access:  read_only
        .address_space:  global
        .offset:         72
        .size:           8
        .value_kind:     global_buffer
      - .address_space:  global
        .offset:         80
        .size:           8
        .value_kind:     global_buffer
    .group_segment_fixed_size: 0
    .kernarg_segment_align: 8
    .kernarg_segment_size: 88
    .language:       OpenCL C
    .language_version:
      - 2
      - 0
    .max_flat_workgroup_size: 60
    .name:           fft_rtc_fwd_len300_factors_10_10_3_wgs_60_tpt_30_halfLds_dp_ip_CI_unitstride_sbrr_R2C_dirReg
    .private_segment_fixed_size: 0
    .sgpr_count:     28
    .sgpr_spill_count: 0
    .symbol:         fft_rtc_fwd_len300_factors_10_10_3_wgs_60_tpt_30_halfLds_dp_ip_CI_unitstride_sbrr_R2C_dirReg.kd
    .uniform_work_group_size: 1
    .uses_dynamic_stack: false
    .vgpr_count:     110
    .vgpr_spill_count: 0
    .wavefront_size: 64
amdhsa.target:   amdgcn-amd-amdhsa--gfx950
amdhsa.version:
  - 1
  - 2
...

	.end_amdgpu_metadata
